;; amdgpu-corpus repo=ROCm/rocFFT kind=compiled arch=gfx1100 opt=O3
	.text
	.amdgcn_target "amdgcn-amd-amdhsa--gfx1100"
	.amdhsa_code_object_version 6
	.protected	fft_rtc_fwd_len24_factors_8_3_wgs_256_tpt_8_halfLds_half_op_CI_CI_sbrr_dirReg ; -- Begin function fft_rtc_fwd_len24_factors_8_3_wgs_256_tpt_8_halfLds_half_op_CI_CI_sbrr_dirReg
	.globl	fft_rtc_fwd_len24_factors_8_3_wgs_256_tpt_8_halfLds_half_op_CI_CI_sbrr_dirReg
	.p2align	8
	.type	fft_rtc_fwd_len24_factors_8_3_wgs_256_tpt_8_halfLds_half_op_CI_CI_sbrr_dirReg,@function
fft_rtc_fwd_len24_factors_8_3_wgs_256_tpt_8_halfLds_half_op_CI_CI_sbrr_dirReg: ; @fft_rtc_fwd_len24_factors_8_3_wgs_256_tpt_8_halfLds_half_op_CI_CI_sbrr_dirReg
; %bb.0:
	s_clause 0x2
	s_load_b128 s[16:19], s[0:1], 0x18
	s_load_b128 s[8:11], s[0:1], 0x0
	;; [unrolled: 1-line block ×3, first 2 shown]
	v_lshrrev_b32_e32 v11, 3, v0
	v_mov_b32_e32 v7, 0
	v_mov_b32_e32 v5, 0
	;; [unrolled: 1-line block ×3, first 2 shown]
	s_waitcnt lgkmcnt(0)
	s_load_b64 s[20:21], s[16:17], 0x0
	s_load_b64 s[12:13], s[18:19], 0x0
	v_cmp_lt_u64_e64 s2, s[10:11], 2
	v_lshl_or_b32 v9, s15, 5, v11
	v_mov_b32_e32 v10, v7
	s_delay_alu instid0(VALU_DEP_3)
	s_and_b32 vcc_lo, exec_lo, s2
	s_cbranch_vccnz .LBB0_8
; %bb.1:
	s_load_b64 s[2:3], s[0:1], 0x10
	v_mov_b32_e32 v5, 0
	v_mov_b32_e32 v6, 0
	s_add_u32 s14, s18, 8
	s_addc_u32 s15, s19, 0
	s_add_u32 s22, s16, 8
	s_delay_alu instid0(VALU_DEP_1)
	v_dual_mov_b32 v1, v5 :: v_dual_mov_b32 v2, v6
	s_addc_u32 s23, s17, 0
	s_mov_b64 s[26:27], 1
	s_waitcnt lgkmcnt(0)
	s_add_u32 s24, s2, 8
	s_addc_u32 s25, s3, 0
.LBB0_2:                                ; =>This Inner Loop Header: Depth=1
	s_load_b64 s[28:29], s[24:25], 0x0
                                        ; implicit-def: $vgpr3_vgpr4
	s_mov_b32 s2, exec_lo
	s_waitcnt lgkmcnt(0)
	v_or_b32_e32 v8, s29, v10
	s_delay_alu instid0(VALU_DEP_1)
	v_cmpx_ne_u64_e32 0, v[7:8]
	s_xor_b32 s3, exec_lo, s2
	s_cbranch_execz .LBB0_4
; %bb.3:                                ;   in Loop: Header=BB0_2 Depth=1
	v_cvt_f32_u32_e32 v3, s28
	v_cvt_f32_u32_e32 v4, s29
	s_sub_u32 s2, 0, s28
	s_subb_u32 s30, 0, s29
	s_delay_alu instid0(VALU_DEP_1) | instskip(NEXT) | instid1(VALU_DEP_1)
	v_fmac_f32_e32 v3, 0x4f800000, v4
	v_rcp_f32_e32 v3, v3
	s_waitcnt_depctr 0xfff
	v_mul_f32_e32 v3, 0x5f7ffffc, v3
	s_delay_alu instid0(VALU_DEP_1) | instskip(NEXT) | instid1(VALU_DEP_1)
	v_mul_f32_e32 v4, 0x2f800000, v3
	v_trunc_f32_e32 v4, v4
	s_delay_alu instid0(VALU_DEP_1) | instskip(SKIP_1) | instid1(VALU_DEP_2)
	v_fmac_f32_e32 v3, 0xcf800000, v4
	v_cvt_u32_f32_e32 v4, v4
	v_cvt_u32_f32_e32 v3, v3
	s_delay_alu instid0(VALU_DEP_2) | instskip(NEXT) | instid1(VALU_DEP_2)
	v_mul_lo_u32 v8, s2, v4
	v_mul_hi_u32 v12, s2, v3
	v_mul_lo_u32 v13, s30, v3
	s_delay_alu instid0(VALU_DEP_2) | instskip(SKIP_1) | instid1(VALU_DEP_2)
	v_add_nc_u32_e32 v8, v12, v8
	v_mul_lo_u32 v12, s2, v3
	v_add_nc_u32_e32 v8, v8, v13
	s_delay_alu instid0(VALU_DEP_2) | instskip(NEXT) | instid1(VALU_DEP_2)
	v_mul_hi_u32 v13, v3, v12
	v_mul_lo_u32 v14, v3, v8
	v_mul_hi_u32 v15, v3, v8
	v_mul_hi_u32 v16, v4, v12
	v_mul_lo_u32 v12, v4, v12
	v_mul_hi_u32 v17, v4, v8
	v_mul_lo_u32 v8, v4, v8
	v_add_co_u32 v13, vcc_lo, v13, v14
	v_add_co_ci_u32_e32 v14, vcc_lo, 0, v15, vcc_lo
	s_delay_alu instid0(VALU_DEP_2) | instskip(NEXT) | instid1(VALU_DEP_2)
	v_add_co_u32 v12, vcc_lo, v13, v12
	v_add_co_ci_u32_e32 v12, vcc_lo, v14, v16, vcc_lo
	v_add_co_ci_u32_e32 v13, vcc_lo, 0, v17, vcc_lo
	s_delay_alu instid0(VALU_DEP_2) | instskip(NEXT) | instid1(VALU_DEP_2)
	v_add_co_u32 v8, vcc_lo, v12, v8
	v_add_co_ci_u32_e32 v12, vcc_lo, 0, v13, vcc_lo
	s_delay_alu instid0(VALU_DEP_2) | instskip(NEXT) | instid1(VALU_DEP_2)
	v_add_co_u32 v3, vcc_lo, v3, v8
	v_add_co_ci_u32_e32 v4, vcc_lo, v4, v12, vcc_lo
	s_delay_alu instid0(VALU_DEP_2) | instskip(SKIP_1) | instid1(VALU_DEP_3)
	v_mul_hi_u32 v8, s2, v3
	v_mul_lo_u32 v13, s30, v3
	v_mul_lo_u32 v12, s2, v4
	s_delay_alu instid0(VALU_DEP_1) | instskip(SKIP_1) | instid1(VALU_DEP_2)
	v_add_nc_u32_e32 v8, v8, v12
	v_mul_lo_u32 v12, s2, v3
	v_add_nc_u32_e32 v8, v8, v13
	s_delay_alu instid0(VALU_DEP_2) | instskip(NEXT) | instid1(VALU_DEP_2)
	v_mul_hi_u32 v13, v3, v12
	v_mul_lo_u32 v14, v3, v8
	v_mul_hi_u32 v15, v3, v8
	v_mul_hi_u32 v16, v4, v12
	v_mul_lo_u32 v12, v4, v12
	v_mul_hi_u32 v17, v4, v8
	v_mul_lo_u32 v8, v4, v8
	v_add_co_u32 v13, vcc_lo, v13, v14
	v_add_co_ci_u32_e32 v14, vcc_lo, 0, v15, vcc_lo
	s_delay_alu instid0(VALU_DEP_2) | instskip(NEXT) | instid1(VALU_DEP_2)
	v_add_co_u32 v12, vcc_lo, v13, v12
	v_add_co_ci_u32_e32 v12, vcc_lo, v14, v16, vcc_lo
	v_add_co_ci_u32_e32 v13, vcc_lo, 0, v17, vcc_lo
	s_delay_alu instid0(VALU_DEP_2) | instskip(NEXT) | instid1(VALU_DEP_2)
	v_add_co_u32 v8, vcc_lo, v12, v8
	v_add_co_ci_u32_e32 v12, vcc_lo, 0, v13, vcc_lo
	s_delay_alu instid0(VALU_DEP_2) | instskip(NEXT) | instid1(VALU_DEP_2)
	v_add_co_u32 v8, vcc_lo, v3, v8
	v_add_co_ci_u32_e32 v16, vcc_lo, v4, v12, vcc_lo
	s_delay_alu instid0(VALU_DEP_2) | instskip(SKIP_1) | instid1(VALU_DEP_3)
	v_mul_hi_u32 v17, v9, v8
	v_mad_u64_u32 v[12:13], null, v10, v8, 0
	v_mad_u64_u32 v[3:4], null, v9, v16, 0
	;; [unrolled: 1-line block ×3, first 2 shown]
	s_delay_alu instid0(VALU_DEP_2) | instskip(NEXT) | instid1(VALU_DEP_3)
	v_add_co_u32 v3, vcc_lo, v17, v3
	v_add_co_ci_u32_e32 v4, vcc_lo, 0, v4, vcc_lo
	s_delay_alu instid0(VALU_DEP_2) | instskip(NEXT) | instid1(VALU_DEP_2)
	v_add_co_u32 v3, vcc_lo, v3, v12
	v_add_co_ci_u32_e32 v3, vcc_lo, v4, v13, vcc_lo
	v_add_co_ci_u32_e32 v4, vcc_lo, 0, v15, vcc_lo
	s_delay_alu instid0(VALU_DEP_2) | instskip(NEXT) | instid1(VALU_DEP_2)
	v_add_co_u32 v8, vcc_lo, v3, v14
	v_add_co_ci_u32_e32 v12, vcc_lo, 0, v4, vcc_lo
	s_delay_alu instid0(VALU_DEP_2) | instskip(SKIP_1) | instid1(VALU_DEP_3)
	v_mul_lo_u32 v13, s29, v8
	v_mad_u64_u32 v[3:4], null, s28, v8, 0
	v_mul_lo_u32 v14, s28, v12
	s_delay_alu instid0(VALU_DEP_2) | instskip(NEXT) | instid1(VALU_DEP_2)
	v_sub_co_u32 v3, vcc_lo, v9, v3
	v_add3_u32 v4, v4, v14, v13
	s_delay_alu instid0(VALU_DEP_1) | instskip(NEXT) | instid1(VALU_DEP_1)
	v_sub_nc_u32_e32 v13, v10, v4
	v_subrev_co_ci_u32_e64 v13, s2, s29, v13, vcc_lo
	v_add_co_u32 v14, s2, v8, 2
	s_delay_alu instid0(VALU_DEP_1) | instskip(SKIP_3) | instid1(VALU_DEP_3)
	v_add_co_ci_u32_e64 v15, s2, 0, v12, s2
	v_sub_co_u32 v16, s2, v3, s28
	v_sub_co_ci_u32_e32 v4, vcc_lo, v10, v4, vcc_lo
	v_subrev_co_ci_u32_e64 v13, s2, 0, v13, s2
	v_cmp_le_u32_e32 vcc_lo, s28, v16
	s_delay_alu instid0(VALU_DEP_3) | instskip(SKIP_1) | instid1(VALU_DEP_4)
	v_cmp_eq_u32_e64 s2, s29, v4
	v_cndmask_b32_e64 v16, 0, -1, vcc_lo
	v_cmp_le_u32_e32 vcc_lo, s29, v13
	v_cndmask_b32_e64 v17, 0, -1, vcc_lo
	v_cmp_le_u32_e32 vcc_lo, s28, v3
	;; [unrolled: 2-line block ×3, first 2 shown]
	v_cndmask_b32_e64 v18, 0, -1, vcc_lo
	v_cmp_eq_u32_e32 vcc_lo, s29, v13
	s_delay_alu instid0(VALU_DEP_2) | instskip(SKIP_3) | instid1(VALU_DEP_3)
	v_cndmask_b32_e64 v3, v18, v3, s2
	v_cndmask_b32_e32 v13, v17, v16, vcc_lo
	v_add_co_u32 v16, vcc_lo, v8, 1
	v_add_co_ci_u32_e32 v17, vcc_lo, 0, v12, vcc_lo
	v_cmp_ne_u32_e32 vcc_lo, 0, v13
	s_delay_alu instid0(VALU_DEP_2) | instskip(SKIP_1) | instid1(VALU_DEP_2)
	v_dual_cndmask_b32 v4, v17, v15 :: v_dual_cndmask_b32 v13, v16, v14
	v_cmp_ne_u32_e32 vcc_lo, 0, v3
	v_cndmask_b32_e32 v4, v12, v4, vcc_lo
	s_delay_alu instid0(VALU_DEP_3)
	v_cndmask_b32_e32 v3, v8, v13, vcc_lo
.LBB0_4:                                ;   in Loop: Header=BB0_2 Depth=1
	s_and_not1_saveexec_b32 s2, s3
	s_cbranch_execz .LBB0_6
; %bb.5:                                ;   in Loop: Header=BB0_2 Depth=1
	v_cvt_f32_u32_e32 v3, s28
	s_sub_i32 s3, 0, s28
	s_delay_alu instid0(VALU_DEP_1) | instskip(SKIP_2) | instid1(VALU_DEP_1)
	v_rcp_iflag_f32_e32 v3, v3
	s_waitcnt_depctr 0xfff
	v_mul_f32_e32 v3, 0x4f7ffffe, v3
	v_cvt_u32_f32_e32 v3, v3
	s_delay_alu instid0(VALU_DEP_1) | instskip(NEXT) | instid1(VALU_DEP_1)
	v_mul_lo_u32 v4, s3, v3
	v_mul_hi_u32 v4, v3, v4
	s_delay_alu instid0(VALU_DEP_1) | instskip(NEXT) | instid1(VALU_DEP_1)
	v_add_nc_u32_e32 v3, v3, v4
	v_mul_hi_u32 v3, v9, v3
	s_delay_alu instid0(VALU_DEP_1) | instskip(SKIP_1) | instid1(VALU_DEP_2)
	v_mul_lo_u32 v4, v3, s28
	v_add_nc_u32_e32 v8, 1, v3
	v_sub_nc_u32_e32 v4, v9, v4
	s_delay_alu instid0(VALU_DEP_1) | instskip(SKIP_1) | instid1(VALU_DEP_2)
	v_subrev_nc_u32_e32 v12, s28, v4
	v_cmp_le_u32_e32 vcc_lo, s28, v4
	v_cndmask_b32_e32 v4, v4, v12, vcc_lo
	v_cndmask_b32_e32 v3, v3, v8, vcc_lo
	s_delay_alu instid0(VALU_DEP_2) | instskip(NEXT) | instid1(VALU_DEP_2)
	v_cmp_le_u32_e32 vcc_lo, s28, v4
	v_add_nc_u32_e32 v8, 1, v3
	v_mov_b32_e32 v4, v7
	s_delay_alu instid0(VALU_DEP_2)
	v_cndmask_b32_e32 v3, v3, v8, vcc_lo
.LBB0_6:                                ;   in Loop: Header=BB0_2 Depth=1
	s_or_b32 exec_lo, exec_lo, s2
	s_delay_alu instid0(VALU_DEP_2) | instskip(NEXT) | instid1(VALU_DEP_2)
	v_mul_lo_u32 v8, v4, s28
	v_mul_lo_u32 v14, v3, s29
	s_load_b64 s[2:3], s[22:23], 0x0
	v_mad_u64_u32 v[12:13], null, v3, s28, 0
	s_load_b64 s[28:29], s[14:15], 0x0
	s_add_u32 s26, s26, 1
	s_addc_u32 s27, s27, 0
	s_add_u32 s14, s14, 8
	s_addc_u32 s15, s15, 0
	s_add_u32 s22, s22, 8
	s_delay_alu instid0(VALU_DEP_1) | instskip(SKIP_3) | instid1(VALU_DEP_2)
	v_add3_u32 v8, v13, v14, v8
	v_sub_co_u32 v14, vcc_lo, v9, v12
	s_addc_u32 s23, s23, 0
	s_add_u32 s24, s24, 8
	v_sub_co_ci_u32_e32 v10, vcc_lo, v10, v8, vcc_lo
	s_addc_u32 s25, s25, 0
	s_waitcnt lgkmcnt(0)
	s_delay_alu instid0(VALU_DEP_1)
	v_mul_lo_u32 v15, s2, v10
	v_mul_lo_u32 v16, s3, v14
	v_mad_u64_u32 v[8:9], null, s2, v14, v[5:6]
	v_mul_lo_u32 v10, s28, v10
	v_mul_lo_u32 v17, s29, v14
	v_mad_u64_u32 v[12:13], null, s28, v14, v[1:2]
	v_cmp_ge_u64_e64 s2, s[26:27], s[10:11]
	v_add3_u32 v6, v16, v9, v15
	v_mov_b32_e32 v5, v8
	s_delay_alu instid0(VALU_DEP_4)
	v_add3_u32 v2, v17, v13, v10
	v_mov_b32_e32 v1, v12
	s_and_b32 vcc_lo, exec_lo, s2
	s_cbranch_vccnz .LBB0_9
; %bb.7:                                ;   in Loop: Header=BB0_2 Depth=1
	v_dual_mov_b32 v10, v4 :: v_dual_mov_b32 v9, v3
	s_branch .LBB0_2
.LBB0_8:
	v_dual_mov_b32 v1, v5 :: v_dual_mov_b32 v2, v6
	s_delay_alu instid0(VALU_DEP_2)
	v_dual_mov_b32 v3, v9 :: v_dual_mov_b32 v4, v10
.LBB0_9:
	s_load_b64 s[0:1], s[0:1], 0x28
	s_lshl_b64 s[10:11], s[10:11], 3
	v_dual_mov_b32 v8, 0 :: v_dual_and_b32 v7, 7, v0
	s_add_u32 s2, s18, s10
	s_addc_u32 s3, s19, s11
	v_dual_mov_b32 v9, 0 :: v_dual_mov_b32 v18, 0
	s_load_b64 s[2:3], s[2:3], 0x0
	v_dual_mov_b32 v13, 0 :: v_dual_mov_b32 v10, 0
	v_dual_mov_b32 v17, 0 :: v_dual_mov_b32 v14, 0
	v_mov_b32_e32 v19, 0
	v_mov_b32_e32 v15, 0
                                        ; implicit-def: $vgpr12
                                        ; implicit-def: $vgpr16
                                        ; implicit-def: $vgpr25
                                        ; implicit-def: $vgpr23
                                        ; implicit-def: $vgpr20
                                        ; implicit-def: $vgpr21
                                        ; implicit-def: $vgpr24
                                        ; implicit-def: $vgpr22
	s_waitcnt lgkmcnt(0)
	v_cmp_gt_u64_e32 vcc_lo, s[0:1], v[3:4]
	s_and_saveexec_b32 s1, vcc_lo
	s_cbranch_execz .LBB0_13
; %bb.10:
	v_dual_mov_b32 v15, 0 :: v_dual_mov_b32 v14, 0
	v_dual_mov_b32 v19, 0 :: v_dual_mov_b32 v10, 0
	;; [unrolled: 1-line block ×3, first 2 shown]
	v_mov_b32_e32 v13, 0
	v_mov_b32_e32 v9, 0
	s_mov_b32 s14, exec_lo
                                        ; implicit-def: $vgpr22
                                        ; implicit-def: $vgpr24
                                        ; implicit-def: $vgpr21
                                        ; implicit-def: $vgpr20
                                        ; implicit-def: $vgpr23
                                        ; implicit-def: $vgpr25
                                        ; implicit-def: $vgpr16
                                        ; implicit-def: $vgpr12
	v_cmpx_gt_u32_e32 3, v7
	s_cbranch_execz .LBB0_12
; %bb.11:
	s_add_u32 s10, s16, s10
	s_addc_u32 s11, s17, s11
	v_add_nc_u32_e32 v24, 6, v7
	s_load_b64 s[10:11], s[10:11], 0x0
	v_mad_u64_u32 v[8:9], null, s20, v7, 0
	v_add_nc_u32_e32 v25, 9, v7
	s_delay_alu instid0(VALU_DEP_3)
	v_mad_u64_u32 v[14:15], null, s20, v24, 0
	v_add_nc_u32_e32 v23, 3, v7
	v_or_b32_e32 v26, 12, v7
	v_lshlrev_b64 v[5:6], 2, v[5:6]
	v_mad_u64_u32 v[18:19], null, s21, v7, v[9:10]
	v_mad_u64_u32 v[19:20], null, s20, v25, 0
	v_mov_b32_e32 v10, v15
	v_mad_u64_u32 v[12:13], null, s20, v23, 0
	v_add_nc_u32_e32 v32, 21, v7
	s_waitcnt lgkmcnt(0)
	v_mul_lo_u32 v21, s11, v3
	v_mul_lo_u32 v22, s10, v4
	v_mad_u64_u32 v[16:17], null, s10, v3, 0
	v_mov_b32_e32 v9, v13
	s_delay_alu instid0(VALU_DEP_2) | instskip(NEXT) | instid1(VALU_DEP_2)
	v_add3_u32 v17, v17, v22, v21
	v_mad_u64_u32 v[21:22], null, s21, v23, v[9:10]
	v_mov_b32_e32 v9, v18
	v_mad_u64_u32 v[22:23], null, s20, v26, 0
	s_delay_alu instid0(VALU_DEP_4) | instskip(SKIP_3) | instid1(VALU_DEP_4)
	v_lshlrev_b64 v[15:16], 2, v[16:17]
	v_mad_u64_u32 v[17:18], null, s21, v24, v[10:11]
	v_dual_mov_b32 v10, v20 :: v_dual_mov_b32 v13, v21
	v_add_nc_u32_e32 v27, 15, v7
	v_add_co_u32 v18, s0, s4, v15
	s_delay_alu instid0(VALU_DEP_1) | instskip(SKIP_1) | instid1(VALU_DEP_3)
	v_add_co_ci_u32_e64 v16, s0, s5, v16, s0
	v_mov_b32_e32 v15, v17
	v_add_co_u32 v30, s0, v18, v5
	s_delay_alu instid0(VALU_DEP_1)
	v_add_co_ci_u32_e64 v31, s0, v16, v6, s0
	v_lshlrev_b64 v[5:6], 2, v[12:13]
	v_mad_u64_u32 v[12:13], null, s21, v25, v[10:11]
	v_mov_b32_e32 v10, v23
	v_mad_u64_u32 v[16:17], null, s20, v27, 0
	v_add_nc_u32_e32 v21, 18, v7
	v_lshlrev_b64 v[13:14], 2, v[14:15]
	s_delay_alu instid0(VALU_DEP_4) | instskip(SKIP_4) | instid1(VALU_DEP_3)
	v_mad_u64_u32 v[23:24], null, s21, v26, v[10:11]
	v_mov_b32_e32 v20, v12
	v_lshlrev_b64 v[8:9], 2, v[8:9]
	v_mov_b32_e32 v10, v17
	v_mad_u64_u32 v[24:25], null, s20, v21, 0
	v_add_co_u32 v8, s0, v30, v8
	s_delay_alu instid0(VALU_DEP_3)
	v_mad_u64_u32 v[17:18], null, s21, v27, v[10:11]
	v_mad_u64_u32 v[26:27], null, s20, v32, 0
	v_add_co_ci_u32_e64 v9, s0, v31, v9, s0
	v_add_co_u32 v5, s0, v30, v5
	v_mov_b32_e32 v10, v25
	v_add_co_ci_u32_e64 v6, s0, v31, v6, s0
	v_add_co_u32 v28, s0, v30, v13
	v_lshlrev_b64 v[12:13], 2, v[19:20]
	v_add_co_ci_u32_e64 v29, s0, v31, v14, s0
	v_mad_u64_u32 v[14:15], null, s21, v21, v[10:11]
	v_mov_b32_e32 v10, v27
	s_delay_alu instid0(VALU_DEP_4) | instskip(NEXT) | instid1(VALU_DEP_1)
	v_add_co_u32 v18, s0, v30, v12
	v_add_co_ci_u32_e64 v19, s0, v31, v13, s0
	s_delay_alu instid0(VALU_DEP_3) | instskip(SKIP_3) | instid1(VALU_DEP_4)
	v_mad_u64_u32 v[20:21], null, s21, v32, v[10:11]
	v_mov_b32_e32 v25, v14
	v_lshlrev_b64 v[12:13], 2, v[22:23]
	v_lshlrev_b64 v[15:16], 2, v[16:17]
	v_mov_b32_e32 v27, v20
	s_delay_alu instid0(VALU_DEP_3) | instskip(NEXT) | instid1(VALU_DEP_1)
	v_add_co_u32 v21, s0, v30, v12
	v_add_co_ci_u32_e64 v22, s0, v31, v13, s0
	v_lshlrev_b64 v[12:13], 2, v[24:25]
	v_add_co_u32 v23, s0, v30, v15
	v_lshlrev_b64 v[14:15], 2, v[26:27]
	v_add_co_ci_u32_e64 v24, s0, v31, v16, s0
	s_delay_alu instid0(VALU_DEP_4) | instskip(NEXT) | instid1(VALU_DEP_1)
	v_add_co_u32 v25, s0, v30, v12
	v_add_co_ci_u32_e64 v26, s0, v31, v13, s0
	s_delay_alu instid0(VALU_DEP_4) | instskip(NEXT) | instid1(VALU_DEP_1)
	v_add_co_u32 v30, s0, v30, v14
	v_add_co_ci_u32_e64 v31, s0, v31, v15, s0
	s_clause 0x7
	global_load_b32 v13, v[8:9], off
	global_load_b32 v17, v[5:6], off
	;; [unrolled: 1-line block ×8, first 2 shown]
	s_waitcnt vmcnt(7)
	v_lshrrev_b32_e32 v9, 16, v13
	s_waitcnt vmcnt(6)
	v_lshrrev_b32_e32 v18, 16, v17
	;; [unrolled: 2-line block ×8, first 2 shown]
.LBB0_12:
	s_or_b32 exec_lo, exec_lo, s14
	v_mov_b32_e32 v8, v7
.LBB0_13:
	s_or_b32 exec_lo, exec_lo, s1
	v_sub_f16_e32 v6, v17, v23
	v_sub_f16_e32 v23, v18, v25
	;; [unrolled: 1-line block ×4, first 2 shown]
	v_mul_u32_u24_e32 v11, 24, v11
	v_fma_f16 v5, v17, 2.0, -v6
	v_fma_f16 v22, v18, 2.0, -v23
	v_sub_f16_e32 v26, v6, v24
	v_add_f16_e32 v27, v23, v25
	v_fma_f16 v15, v15, 2.0, -v25
	v_fma_f16 v17, v19, 2.0, -v24
	v_sub_f16_e32 v21, v14, v21
	v_fma_f16 v6, v6, 2.0, -v26
	v_fma_f16 v19, v23, 2.0, -v27
	v_sub_f16_e32 v25, v10, v20
	v_sub_f16_e32 v18, v5, v15
	;; [unrolled: 1-line block ×3, first 2 shown]
	v_mul_f16_e32 v17, 0x39a8, v6
	v_mul_f16_e32 v20, 0x39a8, v19
	;; [unrolled: 1-line block ×4, first 2 shown]
	v_cmp_gt_u32_e64 s0, 3, v7
	v_lshlrev_b32_e32 v15, 1, v11
	s_delay_alu instid0(VALU_DEP_2)
	s_and_saveexec_b32 s1, s0
	s_cbranch_execz .LBB0_15
; %bb.14:
	v_sub_f16_e32 v6, v13, v16
	v_fma_f16 v11, v14, 2.0, -v21
	v_fma_f16 v5, v5, 2.0, -v18
	v_lshlrev_b32_e32 v28, 4, v7
	s_delay_alu instid0(VALU_DEP_4) | instskip(SKIP_1) | instid1(VALU_DEP_3)
	v_sub_f16_e32 v14, v6, v25
	v_fma_f16 v13, v13, 2.0, -v6
	v_add3_u32 v28, 0, v28, v15
	s_delay_alu instid0(VALU_DEP_3) | instskip(NEXT) | instid1(VALU_DEP_3)
	v_fma_f16 v6, v6, 2.0, -v14
	v_sub_f16_e32 v11, v13, v11
	v_add_f16_e32 v16, v14, v19
	s_delay_alu instid0(VALU_DEP_3) | instskip(NEXT) | instid1(VALU_DEP_3)
	v_sub_f16_e32 v26, v6, v17
	v_fma_f16 v13, v13, 2.0, -v11
	s_delay_alu instid0(VALU_DEP_3) | instskip(SKIP_1) | instid1(VALU_DEP_4)
	v_sub_f16_e32 v16, v16, v23
	v_sub_f16_e32 v27, v11, v24
	;; [unrolled: 1-line block ×3, first 2 shown]
	s_delay_alu instid0(VALU_DEP_4) | instskip(NEXT) | instid1(VALU_DEP_4)
	v_sub_f16_e32 v5, v13, v5
	v_fma_f16 v14, v14, 2.0, -v16
	s_delay_alu instid0(VALU_DEP_4)
	v_fma_f16 v11, v11, 2.0, -v27
	v_pack_b32_f16 v16, v27, v16
	v_fma_f16 v6, v6, 2.0, -v26
	v_fma_f16 v13, v13, 2.0, -v5
	v_pack_b32_f16 v5, v5, v26
	v_pack_b32_f16 v11, v11, v14
	s_delay_alu instid0(VALU_DEP_3)
	v_pack_b32_f16 v6, v13, v6
	ds_store_2addr_b32 v28, v6, v11 offset1:1
	ds_store_2addr_b32 v28, v5, v16 offset0:2 offset1:3
.LBB0_15:
	s_or_b32 exec_lo, exec_lo, s1
	v_lshlrev_b32_e32 v5, 1, v7
	s_waitcnt lgkmcnt(0)
	s_barrier
	buffer_gl0_inv
	v_add_nc_u32_e32 v16, 0, v5
	v_add3_u32 v13, 0, v15, v5
	s_delay_alu instid0(VALU_DEP_2)
	v_add_nc_u32_e32 v14, v16, v15
	ds_load_u16 v5, v13
	ds_load_u16 v6, v14 offset:16
	ds_load_u16 v11, v14 offset:32
	s_waitcnt lgkmcnt(0)
	s_barrier
	buffer_gl0_inv
	s_and_saveexec_b32 s1, s0
	s_cbranch_execz .LBB0_17
; %bb.16:
	v_sub_f16_e32 v12, v9, v12
	v_fma_f16 v10, v10, 2.0, -v25
	v_fma_f16 v22, v22, 2.0, -v24
	v_mul_u32_u24_e32 v7, 14, v7
	s_delay_alu instid0(VALU_DEP_4) | instskip(SKIP_1) | instid1(VALU_DEP_3)
	v_fma_f16 v9, v9, 2.0, -v12
	v_add_f16_e32 v21, v12, v21
	v_add3_u32 v7, v16, v7, v15
	s_delay_alu instid0(VALU_DEP_3) | instskip(NEXT) | instid1(VALU_DEP_3)
	v_sub_f16_e32 v10, v9, v10
	v_fma_f16 v12, v12, 2.0, -v21
	v_add_f16_e32 v23, v21, v23
	s_delay_alu instid0(VALU_DEP_3) | instskip(NEXT) | instid1(VALU_DEP_3)
	v_fma_f16 v9, v9, 2.0, -v10
	v_sub_f16_e32 v20, v12, v20
	v_add_f16_e32 v18, v10, v18
	s_delay_alu instid0(VALU_DEP_4) | instskip(NEXT) | instid1(VALU_DEP_4)
	v_add_f16_e32 v19, v19, v23
	v_sub_f16_e32 v22, v9, v22
	s_delay_alu instid0(VALU_DEP_4) | instskip(NEXT) | instid1(VALU_DEP_4)
	v_add_f16_e32 v17, v17, v20
	v_fma_f16 v10, v10, 2.0, -v18
	s_delay_alu instid0(VALU_DEP_4) | instskip(SKIP_3) | instid1(VALU_DEP_4)
	v_fma_f16 v20, v21, 2.0, -v19
	v_pack_b32_f16 v15, v18, v19
	v_fma_f16 v9, v9, 2.0, -v22
	v_fma_f16 v12, v12, 2.0, -v17
	v_pack_b32_f16 v10, v10, v20
	s_delay_alu instid0(VALU_DEP_2)
	v_pack_b32_f16 v9, v9, v12
	v_pack_b32_f16 v12, v22, v17
	ds_store_2addr_b32 v7, v9, v10 offset1:1
	ds_store_2addr_b32 v7, v12, v15 offset0:2 offset1:3
.LBB0_17:
	s_or_b32 exec_lo, exec_lo, s1
	s_waitcnt lgkmcnt(0)
	s_barrier
	buffer_gl0_inv
	s_and_saveexec_b32 s0, vcc_lo
	s_cbranch_execz .LBB0_19
; %bb.18:
	v_lshlrev_b32_e32 v0, 3, v0
	v_mul_lo_u32 v7, s3, v3
	v_mul_lo_u32 v12, s2, v4
	v_mad_u64_u32 v[15:16], null, s2, v3, 0
	s_delay_alu instid0(VALU_DEP_4)
	v_and_b32_e32 v0, 56, v0
	v_or_b32_e32 v21, 8, v8
	v_mad_u64_u32 v[3:4], null, s12, v8, 0
	v_or_b32_e32 v22, 16, v8
	global_load_b64 v[9:10], v0, s[8:9]
	v_mad_u64_u32 v[17:18], null, s12, v21, 0
	v_lshlrev_b64 v[1:2], 2, v[1:2]
	v_mad_u64_u32 v[19:20], null, s12, v22, 0
	v_mov_b32_e32 v0, v4
	v_add3_u32 v16, v16, v12, v7
	ds_load_u16 v23, v14 offset:32
	ds_load_u16 v24, v14 offset:16
	ds_load_u16 v25, v13
	v_mov_b32_e32 v4, v18
	v_mad_u64_u32 v[12:13], null, s13, v8, v[0:1]
	v_lshlrev_b64 v[7:8], 2, v[15:16]
	v_mov_b32_e32 v0, v20
	s_delay_alu instid0(VALU_DEP_4) | instskip(NEXT) | instid1(VALU_DEP_2)
	v_mad_u64_u32 v[13:14], null, s13, v21, v[4:5]
	v_mad_u64_u32 v[14:15], null, s13, v22, v[0:1]
	s_delay_alu instid0(VALU_DEP_4) | instskip(SKIP_2) | instid1(VALU_DEP_3)
	v_add_co_u32 v0, vcc_lo, s6, v7
	v_add_co_ci_u32_e32 v7, vcc_lo, s7, v8, vcc_lo
	v_mov_b32_e32 v4, v12
	v_add_co_u32 v12, vcc_lo, v0, v1
	s_delay_alu instid0(VALU_DEP_3) | instskip(SKIP_1) | instid1(VALU_DEP_4)
	v_add_co_ci_u32_e32 v15, vcc_lo, v7, v2, vcc_lo
	v_mov_b32_e32 v18, v13
	v_lshlrev_b64 v[0:1], 2, v[3:4]
	v_mov_b32_e32 v20, v14
	s_delay_alu instid0(VALU_DEP_3) | instskip(NEXT) | instid1(VALU_DEP_3)
	v_lshlrev_b64 v[2:3], 2, v[17:18]
	v_add_co_u32 v0, vcc_lo, v12, v0
	s_delay_alu instid0(VALU_DEP_4) | instskip(NEXT) | instid1(VALU_DEP_3)
	v_add_co_ci_u32_e32 v1, vcc_lo, v15, v1, vcc_lo
	v_add_co_u32 v2, vcc_lo, v12, v2
	s_delay_alu instid0(VALU_DEP_4) | instskip(SKIP_4) | instid1(VALU_DEP_2)
	v_add_co_ci_u32_e32 v3, vcc_lo, v15, v3, vcc_lo
	s_waitcnt vmcnt(0)
	v_lshrrev_b32_e32 v7, 16, v9
	v_lshrrev_b32_e32 v8, 16, v10
	s_waitcnt lgkmcnt(1)
	v_mul_f16_e32 v4, v24, v7
	s_delay_alu instid0(VALU_DEP_2)
	v_mul_f16_e32 v13, v23, v8
	v_mul_f16_e32 v14, v6, v7
	;; [unrolled: 1-line block ×3, first 2 shown]
	v_lshlrev_b64 v[7:8], 2, v[19:20]
	v_fma_f16 v4, v6, v9, -v4
	v_fma_f16 v6, v11, v10, -v13
	v_fmac_f16_e32 v14, v9, v24
	v_fmac_f16_e32 v16, v10, v23
	s_delay_alu instid0(VALU_DEP_3) | instskip(SKIP_1) | instid1(VALU_DEP_3)
	v_add_f16_e32 v11, v4, v6
	v_sub_f16_e32 v9, v4, v6
	v_add_f16_e32 v10, v14, v16
	v_sub_f16_e32 v13, v14, v16
	s_waitcnt lgkmcnt(0)
	v_add_f16_e32 v14, v14, v25
	v_add_f16_e32 v4, v5, v4
	v_fma_f16 v11, -0.5, v11, v5
	v_fma_f16 v10, -0.5, v10, v25
	s_delay_alu instid0(VALU_DEP_4) | instskip(NEXT) | instid1(VALU_DEP_4)
	v_add_f16_e32 v14, v16, v14
	v_add_f16_e32 v6, v4, v6
	s_delay_alu instid0(VALU_DEP_4) | instskip(NEXT) | instid1(VALU_DEP_4)
	v_fmamk_f16 v17, v13, 0xbaee, v11
	v_fmamk_f16 v16, v9, 0x3aee, v10
	v_fmac_f16_e32 v10, 0xbaee, v9
	v_fmac_f16_e32 v11, 0x3aee, v13
	v_add_co_u32 v4, vcc_lo, v12, v7
	v_pack_b32_f16 v6, v6, v14
	v_add_co_ci_u32_e32 v5, vcc_lo, v15, v8, vcc_lo
	s_delay_alu instid0(VALU_DEP_4)
	v_pack_b32_f16 v7, v11, v10
	v_pack_b32_f16 v8, v17, v16
	s_clause 0x2
	global_store_b32 v[0:1], v6, off
	global_store_b32 v[2:3], v7, off
	;; [unrolled: 1-line block ×3, first 2 shown]
.LBB0_19:
	s_nop 0
	s_sendmsg sendmsg(MSG_DEALLOC_VGPRS)
	s_endpgm
	.section	.rodata,"a",@progbits
	.p2align	6, 0x0
	.amdhsa_kernel fft_rtc_fwd_len24_factors_8_3_wgs_256_tpt_8_halfLds_half_op_CI_CI_sbrr_dirReg
		.amdhsa_group_segment_fixed_size 0
		.amdhsa_private_segment_fixed_size 0
		.amdhsa_kernarg_size 104
		.amdhsa_user_sgpr_count 15
		.amdhsa_user_sgpr_dispatch_ptr 0
		.amdhsa_user_sgpr_queue_ptr 0
		.amdhsa_user_sgpr_kernarg_segment_ptr 1
		.amdhsa_user_sgpr_dispatch_id 0
		.amdhsa_user_sgpr_private_segment_size 0
		.amdhsa_wavefront_size32 1
		.amdhsa_uses_dynamic_stack 0
		.amdhsa_enable_private_segment 0
		.amdhsa_system_sgpr_workgroup_id_x 1
		.amdhsa_system_sgpr_workgroup_id_y 0
		.amdhsa_system_sgpr_workgroup_id_z 0
		.amdhsa_system_sgpr_workgroup_info 0
		.amdhsa_system_vgpr_workitem_id 0
		.amdhsa_next_free_vgpr 33
		.amdhsa_next_free_sgpr 31
		.amdhsa_reserve_vcc 1
		.amdhsa_float_round_mode_32 0
		.amdhsa_float_round_mode_16_64 0
		.amdhsa_float_denorm_mode_32 3
		.amdhsa_float_denorm_mode_16_64 3
		.amdhsa_dx10_clamp 1
		.amdhsa_ieee_mode 1
		.amdhsa_fp16_overflow 0
		.amdhsa_workgroup_processor_mode 1
		.amdhsa_memory_ordered 1
		.amdhsa_forward_progress 0
		.amdhsa_shared_vgpr_count 0
		.amdhsa_exception_fp_ieee_invalid_op 0
		.amdhsa_exception_fp_denorm_src 0
		.amdhsa_exception_fp_ieee_div_zero 0
		.amdhsa_exception_fp_ieee_overflow 0
		.amdhsa_exception_fp_ieee_underflow 0
		.amdhsa_exception_fp_ieee_inexact 0
		.amdhsa_exception_int_div_zero 0
	.end_amdhsa_kernel
	.text
.Lfunc_end0:
	.size	fft_rtc_fwd_len24_factors_8_3_wgs_256_tpt_8_halfLds_half_op_CI_CI_sbrr_dirReg, .Lfunc_end0-fft_rtc_fwd_len24_factors_8_3_wgs_256_tpt_8_halfLds_half_op_CI_CI_sbrr_dirReg
                                        ; -- End function
	.section	.AMDGPU.csdata,"",@progbits
; Kernel info:
; codeLenInByte = 3292
; NumSgprs: 33
; NumVgprs: 33
; ScratchSize: 0
; MemoryBound: 0
; FloatMode: 240
; IeeeMode: 1
; LDSByteSize: 0 bytes/workgroup (compile time only)
; SGPRBlocks: 4
; VGPRBlocks: 4
; NumSGPRsForWavesPerEU: 33
; NumVGPRsForWavesPerEU: 33
; Occupancy: 16
; WaveLimiterHint : 1
; COMPUTE_PGM_RSRC2:SCRATCH_EN: 0
; COMPUTE_PGM_RSRC2:USER_SGPR: 15
; COMPUTE_PGM_RSRC2:TRAP_HANDLER: 0
; COMPUTE_PGM_RSRC2:TGID_X_EN: 1
; COMPUTE_PGM_RSRC2:TGID_Y_EN: 0
; COMPUTE_PGM_RSRC2:TGID_Z_EN: 0
; COMPUTE_PGM_RSRC2:TIDIG_COMP_CNT: 0
	.text
	.p2alignl 7, 3214868480
	.fill 96, 4, 3214868480
	.type	__hip_cuid_b612644b3c96f9ab,@object ; @__hip_cuid_b612644b3c96f9ab
	.section	.bss,"aw",@nobits
	.globl	__hip_cuid_b612644b3c96f9ab
__hip_cuid_b612644b3c96f9ab:
	.byte	0                               ; 0x0
	.size	__hip_cuid_b612644b3c96f9ab, 1

	.ident	"AMD clang version 19.0.0git (https://github.com/RadeonOpenCompute/llvm-project roc-6.4.0 25133 c7fe45cf4b819c5991fe208aaa96edf142730f1d)"
	.section	".note.GNU-stack","",@progbits
	.addrsig
	.addrsig_sym __hip_cuid_b612644b3c96f9ab
	.amdgpu_metadata
---
amdhsa.kernels:
  - .args:
      - .actual_access:  read_only
        .address_space:  global
        .offset:         0
        .size:           8
        .value_kind:     global_buffer
      - .offset:         8
        .size:           8
        .value_kind:     by_value
      - .actual_access:  read_only
        .address_space:  global
        .offset:         16
        .size:           8
        .value_kind:     global_buffer
      - .actual_access:  read_only
        .address_space:  global
        .offset:         24
        .size:           8
        .value_kind:     global_buffer
      - .actual_access:  read_only
        .address_space:  global
        .offset:         32
        .size:           8
        .value_kind:     global_buffer
      - .offset:         40
        .size:           8
        .value_kind:     by_value
      - .actual_access:  read_only
        .address_space:  global
        .offset:         48
        .size:           8
        .value_kind:     global_buffer
      - .actual_access:  read_only
        .address_space:  global
        .offset:         56
        .size:           8
        .value_kind:     global_buffer
      - .offset:         64
        .size:           4
        .value_kind:     by_value
      - .actual_access:  read_only
        .address_space:  global
        .offset:         72
        .size:           8
        .value_kind:     global_buffer
      - .actual_access:  read_only
        .address_space:  global
        .offset:         80
        .size:           8
        .value_kind:     global_buffer
      - .actual_access:  read_only
        .address_space:  global
        .offset:         88
        .size:           8
        .value_kind:     global_buffer
      - .actual_access:  write_only
        .address_space:  global
        .offset:         96
        .size:           8
        .value_kind:     global_buffer
    .group_segment_fixed_size: 0
    .kernarg_segment_align: 8
    .kernarg_segment_size: 104
    .language:       OpenCL C
    .language_version:
      - 2
      - 0
    .max_flat_workgroup_size: 256
    .name:           fft_rtc_fwd_len24_factors_8_3_wgs_256_tpt_8_halfLds_half_op_CI_CI_sbrr_dirReg
    .private_segment_fixed_size: 0
    .sgpr_count:     33
    .sgpr_spill_count: 0
    .symbol:         fft_rtc_fwd_len24_factors_8_3_wgs_256_tpt_8_halfLds_half_op_CI_CI_sbrr_dirReg.kd
    .uniform_work_group_size: 1
    .uses_dynamic_stack: false
    .vgpr_count:     33
    .vgpr_spill_count: 0
    .wavefront_size: 32
    .workgroup_processor_mode: 1
amdhsa.target:   amdgcn-amd-amdhsa--gfx1100
amdhsa.version:
  - 1
  - 2
...

	.end_amdgpu_metadata
